;; amdgpu-corpus repo=ROCm/rocFFT kind=compiled arch=gfx906 opt=O3
	.text
	.amdgcn_target "amdgcn-amd-amdhsa--gfx906"
	.amdhsa_code_object_version 6
	.protected	fft_rtc_fwd_len520_factors_13_10_4_wgs_52_tpt_52_dp_op_CI_CI_unitstride_sbrr_R2C_dirReg ; -- Begin function fft_rtc_fwd_len520_factors_13_10_4_wgs_52_tpt_52_dp_op_CI_CI_unitstride_sbrr_R2C_dirReg
	.globl	fft_rtc_fwd_len520_factors_13_10_4_wgs_52_tpt_52_dp_op_CI_CI_unitstride_sbrr_R2C_dirReg
	.p2align	8
	.type	fft_rtc_fwd_len520_factors_13_10_4_wgs_52_tpt_52_dp_op_CI_CI_unitstride_sbrr_R2C_dirReg,@function
fft_rtc_fwd_len520_factors_13_10_4_wgs_52_tpt_52_dp_op_CI_CI_unitstride_sbrr_R2C_dirReg: ; @fft_rtc_fwd_len520_factors_13_10_4_wgs_52_tpt_52_dp_op_CI_CI_unitstride_sbrr_R2C_dirReg
; %bb.0:
	s_load_dwordx4 s[8:11], s[4:5], 0x58
	s_load_dwordx4 s[12:15], s[4:5], 0x0
	;; [unrolled: 1-line block ×3, first 2 shown]
	s_mov_b64 s[50:51], s[2:3]
	s_mov_b64 s[48:49], s[0:1]
	v_mul_u32_u24_e32 v1, 0x4ed, v0
	s_waitcnt lgkmcnt(0)
	v_cmp_lt_u64_e64 s[0:1], s[14:15], 2
	s_add_u32 s48, s48, s7
	v_add_u32_sdwa v5, s6, v1 dst_sel:DWORD dst_unused:UNUSED_PAD src0_sel:DWORD src1_sel:WORD_1
	v_mov_b32_e32 v3, 0
	v_mov_b32_e32 v1, 0
	s_addc_u32 s49, s49, 0
	v_mov_b32_e32 v6, v3
	s_and_b64 vcc, exec, s[0:1]
	v_mov_b32_e32 v2, 0
	s_cbranch_vccnz .LBB0_8
; %bb.1:
	s_load_dwordx2 s[0:1], s[4:5], 0x10
	s_add_u32 s2, s18, 8
	s_addc_u32 s3, s19, 0
	s_add_u32 s6, s16, 8
	v_mov_b32_e32 v1, 0
	s_addc_u32 s7, s17, 0
	v_mov_b32_e32 v2, 0
	s_waitcnt lgkmcnt(0)
	s_add_u32 s20, s0, 8
	v_mov_b32_e32 v65, v2
	s_addc_u32 s21, s1, 0
	s_mov_b64 s[22:23], 1
	v_mov_b32_e32 v64, v1
.LBB0_2:                                ; =>This Inner Loop Header: Depth=1
	s_load_dwordx2 s[24:25], s[20:21], 0x0
                                        ; implicit-def: $vgpr68_vgpr69
	s_waitcnt lgkmcnt(0)
	v_or_b32_e32 v4, s25, v6
	v_cmp_ne_u64_e32 vcc, 0, v[3:4]
	s_and_saveexec_b64 s[0:1], vcc
	s_xor_b64 s[26:27], exec, s[0:1]
	s_cbranch_execz .LBB0_4
; %bb.3:                                ;   in Loop: Header=BB0_2 Depth=1
	v_cvt_f32_u32_e32 v4, s24
	v_cvt_f32_u32_e32 v7, s25
	s_sub_u32 s0, 0, s24
	s_subb_u32 s1, 0, s25
	v_mac_f32_e32 v4, 0x4f800000, v7
	v_rcp_f32_e32 v4, v4
	v_mul_f32_e32 v4, 0x5f7ffffc, v4
	v_mul_f32_e32 v7, 0x2f800000, v4
	v_trunc_f32_e32 v7, v7
	v_mac_f32_e32 v4, 0xcf800000, v7
	v_cvt_u32_f32_e32 v7, v7
	v_cvt_u32_f32_e32 v4, v4
	v_mul_lo_u32 v8, s0, v7
	v_mul_hi_u32 v9, s0, v4
	v_mul_lo_u32 v11, s1, v4
	v_mul_lo_u32 v10, s0, v4
	v_add_u32_e32 v8, v9, v8
	v_add_u32_e32 v8, v8, v11
	v_mul_hi_u32 v9, v4, v10
	v_mul_lo_u32 v11, v4, v8
	v_mul_hi_u32 v13, v4, v8
	v_mul_hi_u32 v12, v7, v10
	v_mul_lo_u32 v10, v7, v10
	v_mul_hi_u32 v14, v7, v8
	v_add_co_u32_e32 v9, vcc, v9, v11
	v_addc_co_u32_e32 v11, vcc, 0, v13, vcc
	v_mul_lo_u32 v8, v7, v8
	v_add_co_u32_e32 v9, vcc, v9, v10
	v_addc_co_u32_e32 v9, vcc, v11, v12, vcc
	v_addc_co_u32_e32 v10, vcc, 0, v14, vcc
	v_add_co_u32_e32 v8, vcc, v9, v8
	v_addc_co_u32_e32 v9, vcc, 0, v10, vcc
	v_add_co_u32_e32 v4, vcc, v4, v8
	v_addc_co_u32_e32 v7, vcc, v7, v9, vcc
	v_mul_lo_u32 v8, s0, v7
	v_mul_hi_u32 v9, s0, v4
	v_mul_lo_u32 v10, s1, v4
	v_mul_lo_u32 v11, s0, v4
	v_add_u32_e32 v8, v9, v8
	v_add_u32_e32 v8, v8, v10
	v_mul_lo_u32 v12, v4, v8
	v_mul_hi_u32 v13, v4, v11
	v_mul_hi_u32 v14, v4, v8
	;; [unrolled: 1-line block ×3, first 2 shown]
	v_mul_lo_u32 v11, v7, v11
	v_mul_hi_u32 v9, v7, v8
	v_add_co_u32_e32 v12, vcc, v13, v12
	v_addc_co_u32_e32 v13, vcc, 0, v14, vcc
	v_mul_lo_u32 v8, v7, v8
	v_add_co_u32_e32 v11, vcc, v12, v11
	v_addc_co_u32_e32 v10, vcc, v13, v10, vcc
	v_addc_co_u32_e32 v9, vcc, 0, v9, vcc
	v_add_co_u32_e32 v8, vcc, v10, v8
	v_addc_co_u32_e32 v9, vcc, 0, v9, vcc
	v_add_co_u32_e32 v4, vcc, v4, v8
	v_addc_co_u32_e32 v9, vcc, v7, v9, vcc
	v_mad_u64_u32 v[7:8], s[0:1], v5, v9, 0
	v_mul_hi_u32 v10, v5, v4
	v_add_co_u32_e32 v11, vcc, v10, v7
	v_addc_co_u32_e32 v12, vcc, 0, v8, vcc
	v_mad_u64_u32 v[7:8], s[0:1], v6, v4, 0
	v_mad_u64_u32 v[9:10], s[0:1], v6, v9, 0
	v_add_co_u32_e32 v4, vcc, v11, v7
	v_addc_co_u32_e32 v4, vcc, v12, v8, vcc
	v_addc_co_u32_e32 v7, vcc, 0, v10, vcc
	v_add_co_u32_e32 v4, vcc, v4, v9
	v_addc_co_u32_e32 v9, vcc, 0, v7, vcc
	v_mul_lo_u32 v10, s25, v4
	v_mul_lo_u32 v11, s24, v9
	v_mad_u64_u32 v[7:8], s[0:1], s24, v4, 0
	v_add3_u32 v8, v8, v11, v10
	v_sub_u32_e32 v10, v6, v8
	v_mov_b32_e32 v11, s25
	v_sub_co_u32_e32 v7, vcc, v5, v7
	v_subb_co_u32_e64 v10, s[0:1], v10, v11, vcc
	v_subrev_co_u32_e64 v11, s[0:1], s24, v7
	v_subbrev_co_u32_e64 v10, s[0:1], 0, v10, s[0:1]
	v_cmp_le_u32_e64 s[0:1], s25, v10
	v_cndmask_b32_e64 v12, 0, -1, s[0:1]
	v_cmp_le_u32_e64 s[0:1], s24, v11
	v_cndmask_b32_e64 v11, 0, -1, s[0:1]
	v_cmp_eq_u32_e64 s[0:1], s25, v10
	v_cndmask_b32_e64 v10, v12, v11, s[0:1]
	v_add_co_u32_e64 v11, s[0:1], 2, v4
	v_addc_co_u32_e64 v12, s[0:1], 0, v9, s[0:1]
	v_add_co_u32_e64 v13, s[0:1], 1, v4
	v_addc_co_u32_e64 v14, s[0:1], 0, v9, s[0:1]
	v_subb_co_u32_e32 v8, vcc, v6, v8, vcc
	v_cmp_ne_u32_e64 s[0:1], 0, v10
	v_cmp_le_u32_e32 vcc, s25, v8
	v_cndmask_b32_e64 v10, v14, v12, s[0:1]
	v_cndmask_b32_e64 v12, 0, -1, vcc
	v_cmp_le_u32_e32 vcc, s24, v7
	v_cndmask_b32_e64 v7, 0, -1, vcc
	v_cmp_eq_u32_e32 vcc, s25, v8
	v_cndmask_b32_e32 v7, v12, v7, vcc
	v_cmp_ne_u32_e32 vcc, 0, v7
	v_cndmask_b32_e64 v7, v13, v11, s[0:1]
	v_cndmask_b32_e32 v69, v9, v10, vcc
	v_cndmask_b32_e32 v68, v4, v7, vcc
.LBB0_4:                                ;   in Loop: Header=BB0_2 Depth=1
	s_andn2_saveexec_b64 s[0:1], s[26:27]
	s_cbranch_execz .LBB0_6
; %bb.5:                                ;   in Loop: Header=BB0_2 Depth=1
	v_cvt_f32_u32_e32 v4, s24
	s_sub_i32 s26, 0, s24
	v_mov_b32_e32 v69, v3
	v_rcp_iflag_f32_e32 v4, v4
	v_mul_f32_e32 v4, 0x4f7ffffe, v4
	v_cvt_u32_f32_e32 v4, v4
	v_mul_lo_u32 v7, s26, v4
	v_mul_hi_u32 v7, v4, v7
	v_add_u32_e32 v4, v4, v7
	v_mul_hi_u32 v4, v5, v4
	v_mul_lo_u32 v7, v4, s24
	v_add_u32_e32 v8, 1, v4
	v_sub_u32_e32 v7, v5, v7
	v_subrev_u32_e32 v9, s24, v7
	v_cmp_le_u32_e32 vcc, s24, v7
	v_cndmask_b32_e32 v7, v7, v9, vcc
	v_cndmask_b32_e32 v4, v4, v8, vcc
	v_add_u32_e32 v8, 1, v4
	v_cmp_le_u32_e32 vcc, s24, v7
	v_cndmask_b32_e32 v68, v4, v8, vcc
.LBB0_6:                                ;   in Loop: Header=BB0_2 Depth=1
	s_or_b64 exec, exec, s[0:1]
	v_mul_lo_u32 v4, v69, s24
	v_mul_lo_u32 v9, v68, s25
	v_mad_u64_u32 v[7:8], s[0:1], v68, s24, 0
	s_load_dwordx2 s[0:1], s[6:7], 0x0
	s_load_dwordx2 s[24:25], s[2:3], 0x0
	v_add3_u32 v4, v8, v9, v4
	v_sub_co_u32_e32 v5, vcc, v5, v7
	v_subb_co_u32_e32 v4, vcc, v6, v4, vcc
	s_waitcnt lgkmcnt(0)
	v_mul_lo_u32 v6, s0, v4
	v_mul_lo_u32 v7, s1, v5
	v_mad_u64_u32 v[1:2], s[0:1], s0, v5, v[1:2]
	v_mul_lo_u32 v4, s24, v4
	v_mul_lo_u32 v8, s25, v5
	v_mad_u64_u32 v[64:65], s[0:1], s24, v5, v[64:65]
	s_add_u32 s22, s22, 1
	s_addc_u32 s23, s23, 0
	s_add_u32 s2, s2, 8
	v_add3_u32 v65, v8, v65, v4
	s_addc_u32 s3, s3, 0
	v_mov_b32_e32 v4, s14
	s_add_u32 s6, s6, 8
	v_mov_b32_e32 v5, s15
	s_addc_u32 s7, s7, 0
	v_cmp_ge_u64_e32 vcc, s[22:23], v[4:5]
	s_add_u32 s20, s20, 8
	v_add3_u32 v2, v7, v2, v6
	s_addc_u32 s21, s21, 0
	s_cbranch_vccnz .LBB0_9
; %bb.7:                                ;   in Loop: Header=BB0_2 Depth=1
	v_mov_b32_e32 v5, v68
	v_mov_b32_e32 v6, v69
	s_branch .LBB0_2
.LBB0_8:
	v_mov_b32_e32 v65, v2
	v_mov_b32_e32 v69, v6
	;; [unrolled: 1-line block ×4, first 2 shown]
.LBB0_9:
	s_load_dwordx2 s[4:5], s[4:5], 0x28
	s_lshl_b64 s[6:7], s[14:15], 3
	s_add_u32 s2, s18, s6
	s_addc_u32 s3, s19, s7
                                        ; implicit-def: $vgpr66
	s_waitcnt lgkmcnt(0)
	v_cmp_gt_u64_e64 s[0:1], s[4:5], v[68:69]
	v_cmp_le_u64_e32 vcc, s[4:5], v[68:69]
	s_and_saveexec_b64 s[4:5], vcc
	s_xor_b64 s[4:5], exec, s[4:5]
; %bb.10:
	s_mov_b32 s14, 0x4ec4ec5
	v_mul_hi_u32 v1, v0, s14
	v_mul_u32_u24_e32 v1, 52, v1
	v_sub_u32_e32 v66, v0, v1
                                        ; implicit-def: $vgpr0
                                        ; implicit-def: $vgpr1_vgpr2
; %bb.11:
	s_andn2_saveexec_b64 s[4:5], s[4:5]
	s_cbranch_execz .LBB0_13
; %bb.12:
	s_add_u32 s6, s16, s6
	s_addc_u32 s7, s17, s7
	s_load_dwordx2 s[6:7], s[6:7], 0x0
	s_mov_b32 s14, 0x4ec4ec5
	v_mul_hi_u32 v5, v0, s14
	s_waitcnt lgkmcnt(0)
	v_mul_lo_u32 v6, s7, v68
	v_mul_lo_u32 v7, s6, v69
	v_mad_u64_u32 v[3:4], s[6:7], s6, v68, 0
	v_mul_u32_u24_e32 v5, 52, v5
	v_sub_u32_e32 v66, v0, v5
	v_add3_u32 v4, v4, v7, v6
	v_lshlrev_b64 v[3:4], 4, v[3:4]
	v_mov_b32_e32 v0, s9
	v_add_co_u32_e32 v3, vcc, s8, v3
	v_addc_co_u32_e32 v4, vcc, v0, v4, vcc
	v_lshlrev_b64 v[0:1], 4, v[1:2]
	v_lshlrev_b32_e32 v44, 4, v66
	v_add_co_u32_e32 v0, vcc, v3, v0
	v_addc_co_u32_e32 v1, vcc, v4, v1, vcc
	v_add_co_u32_e32 v40, vcc, v0, v44
	v_addc_co_u32_e32 v41, vcc, 0, v1, vcc
	v_add_co_u32_e32 v42, vcc, 0x1000, v40
	global_load_dwordx4 v[0:3], v[40:41], off
	global_load_dwordx4 v[4:7], v[40:41], off offset:832
	global_load_dwordx4 v[8:11], v[40:41], off offset:1664
	;; [unrolled: 1-line block ×3, first 2 shown]
	v_addc_co_u32_e32 v43, vcc, 0, v41, vcc
	global_load_dwordx4 v[16:19], v[40:41], off offset:3328
	global_load_dwordx4 v[20:23], v[42:43], off offset:64
	;; [unrolled: 1-line block ×6, first 2 shown]
	v_add_u32_e32 v40, 0, v44
	s_waitcnt vmcnt(9)
	ds_write_b128 v40, v[0:3]
	s_waitcnt vmcnt(8)
	ds_write_b128 v40, v[4:7] offset:832
	s_waitcnt vmcnt(7)
	ds_write_b128 v40, v[8:11] offset:1664
	;; [unrolled: 2-line block ×9, first 2 shown]
.LBB0_13:
	s_or_b64 exec, exec, s[4:5]
	v_lshl_add_u32 v172, v66, 4, 0
	s_waitcnt lgkmcnt(0)
	; wave barrier
	s_waitcnt lgkmcnt(0)
	ds_read_b128 v[8:11], v172 offset:7680
	ds_read_b128 v[16:19], v172 offset:640
	;; [unrolled: 1-line block ×3, first 2 shown]
	ds_read_b128 v[24:27], v172
	ds_read_b128 v[32:35], v172 offset:1280
	s_mov_b32 s8, 0x42a4c3d2
	s_waitcnt lgkmcnt(3)
	v_add_f64 v[74:75], v[18:19], -v[10:11]
	s_mov_b32 s9, 0xbfea55e2
	v_add_f64 v[70:71], v[16:17], v[8:9]
	s_waitcnt lgkmcnt(0)
	v_add_f64 v[76:77], v[34:35], -v[14:15]
	v_add_f64 v[78:79], v[16:17], -v[8:9]
	s_mov_b32 s14, 0x1ea71119
	s_mov_b32 s4, 0x2ef20147
	;; [unrolled: 1-line block ×3, first 2 shown]
	v_mul_f64 v[104:105], v[74:75], s[8:9]
	s_mov_b32 s15, 0x3fe22d96
	s_mov_b32 s5, 0xbfedeba7
	;; [unrolled: 1-line block ×3, first 2 shown]
	v_add_f64 v[72:73], v[32:33], v[12:13]
	v_add_f64 v[100:101], v[18:19], v[10:11]
	v_mul_f64 v[98:99], v[76:77], s[4:5]
	v_mul_f64 v[116:117], v[78:79], s[8:9]
	v_fma_f64 v[0:1], v[70:71], s[14:15], v[104:105]
	v_add_f64 v[80:81], v[32:33], -v[12:13]
	v_mul_f64 v[148:149], v[74:75], s[22:23]
	v_mul_f64 v[162:163], v[78:79], s[22:23]
	ds_read_b128 v[28:31], v172 offset:1920
	ds_read_b128 v[20:23], v172 offset:6400
	s_mov_b32 s6, 0xb2365da1
	s_mov_b32 s16, 0x4bc48dbf
	;; [unrolled: 1-line block ×6, first 2 shown]
	s_waitcnt lgkmcnt(0)
	v_add_f64 v[84:85], v[30:31], -v[22:23]
	v_add_f64 v[0:1], v[24:25], v[0:1]
	v_fma_f64 v[2:3], v[72:73], s[6:7], v[98:99]
	v_fma_f64 v[4:5], v[100:101], s[14:15], -v[116:117]
	v_add_f64 v[106:107], v[34:35], v[14:15]
	v_mul_f64 v[118:119], v[80:81], s[4:5]
	v_add_f64 v[86:87], v[28:29], -v[20:21]
	v_fma_f64 v[52:53], v[70:71], s[30:31], v[148:149]
	v_mul_f64 v[150:151], v[76:77], s[16:17]
	v_fma_f64 v[54:55], v[100:101], s[30:31], -v[162:163]
	v_mul_f64 v[166:167], v[80:81], s[16:17]
	ds_read_b128 v[36:39], v172 offset:5760
	ds_read_b128 v[40:43], v172 offset:2560
	s_mov_b32 s18, 0x93053d00
	s_mov_b32 s19, 0xbfef11f4
	;; [unrolled: 1-line block ×4, first 2 shown]
	v_add_f64 v[82:83], v[28:29], v[20:21]
	v_mul_f64 v[144:145], v[84:85], s[16:17]
	v_add_f64 v[0:1], v[2:3], v[0:1]
	v_add_f64 v[2:3], v[26:27], v[4:5]
	v_fma_f64 v[4:5], v[106:107], s[6:7], -v[118:119]
	v_add_f64 v[90:91], v[30:31], v[22:23]
	v_mul_f64 v[120:121], v[86:87], s[16:17]
	s_waitcnt lgkmcnt(0)
	v_add_f64 v[102:103], v[42:43], -v[38:39]
	v_add_f64 v[94:95], v[40:41], -v[36:37]
	v_add_f64 v[60:61], v[24:25], v[52:53]
	v_fma_f64 v[62:63], v[72:73], s[18:19], v[150:151]
	v_add_f64 v[122:123], v[26:27], v[54:55]
	v_fma_f64 v[124:125], v[106:107], s[18:19], -v[166:167]
	v_mul_f64 v[154:155], v[84:85], s[38:39]
	v_mul_f64 v[160:161], v[86:87], s[38:39]
	ds_read_b128 v[44:47], v172 offset:3200
	ds_read_b128 v[48:51], v172 offset:5120
	s_mov_b32 s24, 0x24c2f84
	s_mov_b32 s42, 0x4267c47c
	;; [unrolled: 1-line block ×4, first 2 shown]
	v_fma_f64 v[6:7], v[82:83], s[18:19], v[144:145]
	v_add_f64 v[2:3], v[4:5], v[2:3]
	v_fma_f64 v[4:5], v[90:91], s[18:19], -v[120:121]
	v_add_f64 v[92:93], v[40:41], v[36:37]
	v_mul_f64 v[114:115], v[102:103], s[24:25]
	v_add_f64 v[112:113], v[42:43], v[38:39]
	v_mul_f64 v[132:133], v[94:95], s[24:25]
	s_waitcnt lgkmcnt(0)
	v_add_f64 v[108:109], v[46:47], -v[50:51]
	v_add_f64 v[96:97], v[44:45], -v[48:49]
	v_add_f64 v[60:61], v[62:63], v[60:61]
	v_add_f64 v[62:63], v[124:125], v[122:123]
	v_fma_f64 v[124:125], v[82:83], s[6:7], v[154:155]
	v_fma_f64 v[134:135], v[90:91], s[6:7], -v[160:161]
	v_mul_f64 v[156:157], v[102:103], s[42:43]
	v_mul_f64 v[164:165], v[94:95], s[42:43]
	ds_read_b128 v[56:59], v172 offset:3840
	ds_read_b128 v[52:55], v172 offset:4480
	s_mov_b32 s20, 0xd0032e0c
	s_mov_b32 s36, 0xe00740e9
	;; [unrolled: 1-line block ×6, first 2 shown]
	v_add_f64 v[0:1], v[6:7], v[0:1]
	v_add_f64 v[2:3], v[4:5], v[2:3]
	v_fma_f64 v[4:5], v[92:93], s[20:21], v[114:115]
	v_fma_f64 v[6:7], v[112:113], s[20:21], -v[132:133]
	v_add_f64 v[110:111], v[44:45], v[48:49]
	v_mul_f64 v[128:129], v[108:109], s[28:29]
	v_add_f64 v[126:127], v[46:47], v[50:51]
	v_mul_f64 v[138:139], v[96:97], s[28:29]
	s_waitcnt lgkmcnt(0)
	v_add_f64 v[130:131], v[58:59], -v[54:55]
	v_add_f64 v[122:123], v[56:57], -v[52:53]
	v_add_f64 v[60:61], v[124:125], v[60:61]
	v_add_f64 v[62:63], v[134:135], v[62:63]
	v_fma_f64 v[140:141], v[92:93], s[36:37], v[156:157]
	v_fma_f64 v[142:143], v[112:113], s[36:37], -v[164:165]
	v_mul_f64 v[152:153], v[108:109], s[8:9]
	v_mul_f64 v[168:169], v[96:97], s[8:9]
	s_mov_b32 s35, 0xbfe5384d
	s_mov_b32 s34, s24
	v_add_f64 v[0:1], v[4:5], v[0:1]
	v_add_f64 v[2:3], v[6:7], v[2:3]
	v_fma_f64 v[4:5], v[110:111], s[30:31], v[128:129]
	v_fma_f64 v[6:7], v[126:127], s[30:31], -v[138:139]
	v_add_f64 v[124:125], v[56:57], v[52:53]
	v_mul_f64 v[136:137], v[130:131], s[42:43]
	v_add_f64 v[134:135], v[58:59], v[54:55]
	v_mul_f64 v[146:147], v[122:123], s[42:43]
	v_add_f64 v[60:61], v[140:141], v[60:61]
	v_add_f64 v[62:63], v[142:143], v[62:63]
	v_fma_f64 v[140:141], v[110:111], s[14:15], v[152:153]
	v_fma_f64 v[142:143], v[126:127], s[14:15], -v[168:169]
	v_mul_f64 v[158:159], v[130:131], s[34:35]
	v_mul_f64 v[170:171], v[122:123], s[34:35]
	v_add_f64 v[0:1], v[4:5], v[0:1]
	v_add_f64 v[2:3], v[6:7], v[2:3]
	v_fma_f64 v[4:5], v[124:125], s[36:37], v[136:137]
	v_fma_f64 v[6:7], v[134:135], s[36:37], -v[146:147]
	v_add_f64 v[60:61], v[140:141], v[60:61]
	v_add_f64 v[62:63], v[142:143], v[62:63]
	v_fma_f64 v[140:141], v[124:125], s[20:21], v[158:159]
	v_fma_f64 v[142:143], v[134:135], s[20:21], -v[170:171]
	v_cmp_gt_u32_e32 vcc, 40, v66
	v_add_f64 v[4:5], v[4:5], v[0:1]
	v_add_f64 v[6:7], v[6:7], v[2:3]
	; wave barrier
	v_add_f64 v[0:1], v[140:141], v[60:61]
	v_add_f64 v[2:3], v[142:143], v[62:63]
	s_and_saveexec_b64 s[26:27], vcc
	s_cbranch_execz .LBB0_15
; %bb.14:
	v_mul_f64 v[60:61], v[92:93], s[20:21]
	s_mov_b32 s41, 0x3fcea1e5
	s_mov_b32 s40, s16
	v_mul_f64 v[62:63], v[106:107], s[36:37]
	v_mul_f64 v[173:174], v[74:75], s[16:17]
	s_mov_b32 s45, 0xbfddbe06
	s_mov_b32 s44, s42
	v_mul_f64 v[177:178], v[90:91], s[20:21]
	buffer_store_dword v60, off, s[48:51], 0 ; 4-byte Folded Spill
	s_nop 0
	buffer_store_dword v61, off, s[48:51], 0 offset:4 ; 4-byte Folded Spill
	v_mul_f64 v[60:61], v[100:101], s[18:19]
	v_mul_f64 v[179:180], v[76:77], s[42:43]
	v_fma_f64 v[183:184], v[80:81], s[44:45], v[62:63]
	v_fma_f64 v[181:182], v[70:71], s[18:19], v[173:174]
	v_mul_f64 v[217:218], v[112:113], s[14:15]
	v_mul_f64 v[219:220], v[84:85], s[34:35]
	v_fma_f64 v[223:224], v[86:87], s[24:25], v[177:178]
	s_mov_b32 s47, 0x3fea55e2
	v_fma_f64 v[175:176], v[78:79], s[40:41], v[60:61]
	v_fma_f64 v[221:222], v[72:73], s[36:37], v[179:180]
	s_mov_b32 s46, s8
	v_add_f64 v[181:182], v[24:25], v[181:182]
	v_fma_f64 v[60:61], v[78:79], s[16:17], v[60:61]
	v_fma_f64 v[225:226], v[82:83], s[20:21], v[219:220]
	;; [unrolled: 1-line block ×4, first 2 shown]
	v_add_f64 v[175:176], v[26:27], v[175:176]
	v_fma_f64 v[177:178], v[86:87], s[34:35], v[177:178]
	v_fma_f64 v[173:174], v[70:71], s[18:19], -v[173:174]
	v_add_f64 v[181:182], v[221:222], v[181:182]
	v_mul_f64 v[221:222], v[126:127], s[6:7]
	v_add_f64 v[60:61], v[26:27], v[60:61]
	v_fma_f64 v[217:218], v[94:95], s[46:47], v[217:218]
	v_fma_f64 v[179:180], v[72:73], s[36:37], -v[179:180]
	v_add_f64 v[175:176], v[183:184], v[175:176]
	v_mul_f64 v[183:184], v[102:103], s[46:47]
	v_add_f64 v[173:174], v[24:25], v[173:174]
	v_add_f64 v[181:182], v[225:226], v[181:182]
	v_mul_f64 v[225:226], v[134:135], s[30:31]
	v_fma_f64 v[231:232], v[96:97], s[38:39], v[221:222]
	v_add_f64 v[60:61], v[62:63], v[60:61]
	v_mul_f64 v[239:240], v[76:77], s[28:29]
	v_add_f64 v[175:176], v[223:224], v[175:176]
	v_mul_f64 v[223:224], v[108:109], s[4:5]
	v_fma_f64 v[229:230], v[92:93], s[14:15], v[183:184]
	v_fma_f64 v[219:220], v[82:83], s[20:21], -v[219:220]
	v_add_f64 v[173:174], v[179:180], v[173:174]
	v_mul_f64 v[247:248], v[84:85], s[8:9]
	v_add_f64 v[60:61], v[177:178], v[60:61]
	v_fma_f64 v[179:180], v[72:73], s[30:31], v[239:240]
	v_add_f64 v[175:176], v[227:228], v[175:176]
	v_mul_f64 v[227:228], v[130:131], s[28:29]
	v_fma_f64 v[233:234], v[110:111], s[6:7], v[223:224]
	v_add_f64 v[62:63], v[229:230], v[181:182]
	v_fma_f64 v[181:182], v[122:123], s[22:23], v[225:226]
	v_fma_f64 v[183:184], v[92:93], s[14:15], -v[183:184]
	v_add_f64 v[217:218], v[217:218], v[60:61]
	v_add_f64 v[173:174], v[219:220], v[173:174]
	;; [unrolled: 1-line block ×3, first 2 shown]
	v_fma_f64 v[235:236], v[124:125], s[30:31], v[227:228]
	v_mul_f64 v[245:246], v[112:113], s[18:19]
	v_add_f64 v[177:178], v[233:234], v[62:63]
	v_fma_f64 v[251:252], v[82:83], s[14:15], v[247:248]
	v_fma_f64 v[223:224], v[110:111], s[6:7], -v[223:224]
	v_mul_f64 v[219:220], v[126:127], s[36:37]
	v_add_f64 v[173:174], v[183:184], v[173:174]
	v_add_f64 v[62:63], v[181:182], v[175:176]
	v_mul_f64 v[175:176], v[100:101], s[20:21]
	v_fma_f64 v[181:182], v[96:97], s[4:5], v[221:222]
	v_mul_f64 v[221:222], v[74:75], s[34:35]
	v_add_f64 v[60:61], v[235:236], v[177:178]
	v_fma_f64 v[177:178], v[122:123], s[28:29], v[225:226]
	v_mul_f64 v[225:226], v[106:107], s[30:31]
	v_add_f64 v[173:174], v[223:224], v[173:174]
	v_mul_f64 v[183:184], v[134:135], s[6:7]
	v_fma_f64 v[235:236], v[78:79], s[24:25], v[175:176]
	v_add_f64 v[181:182], v[181:182], v[217:218]
	v_fma_f64 v[241:242], v[70:71], s[20:21], v[221:222]
	v_mul_f64 v[217:218], v[90:91], s[14:15]
	v_fma_f64 v[223:224], v[78:79], s[34:35], v[175:176]
	v_fma_f64 v[243:244], v[80:81], s[22:23], v[225:226]
	v_fma_f64 v[227:228], v[124:125], s[30:31], -v[227:228]
	v_fma_f64 v[221:222], v[70:71], s[20:21], -v[221:222]
	v_add_f64 v[235:236], v[26:27], v[235:236]
	v_add_f64 v[175:176], v[177:178], v[181:182]
	;; [unrolled: 1-line block ×3, first 2 shown]
	v_fma_f64 v[249:250], v[86:87], s[46:47], v[217:218]
	v_fma_f64 v[177:178], v[80:81], s[28:29], v[225:226]
	v_add_f64 v[181:182], v[26:27], v[223:224]
	v_add_f64 v[173:174], v[227:228], v[173:174]
	v_fma_f64 v[217:218], v[86:87], s[8:9], v[217:218]
	v_add_f64 v[235:236], v[243:244], v[235:236]
	v_mul_f64 v[243:244], v[102:103], s[40:41]
	v_add_f64 v[179:180], v[179:180], v[241:242]
	v_fma_f64 v[241:242], v[94:95], s[16:17], v[245:246]
	v_mul_f64 v[225:226], v[100:101], s[6:7]
	v_add_f64 v[181:182], v[177:178], v[181:182]
	v_fma_f64 v[227:228], v[72:73], s[30:31], -v[239:240]
	v_add_f64 v[221:222], v[24:25], v[221:222]
	v_add_f64 v[235:236], v[249:250], v[235:236]
	v_mul_f64 v[249:250], v[108:109], s[42:43]
	v_fma_f64 v[253:254], v[92:93], s[18:19], v[243:244]
	v_add_f64 v[179:180], v[251:252], v[179:180]
	v_fma_f64 v[251:252], v[96:97], s[44:45], v[219:220]
	v_add_f64 v[18:19], v[26:27], v[18:19]
	v_mul_f64 v[191:192], v[100:101], s[30:31]
	v_add_f64 v[181:182], v[217:218], v[181:182]
	v_add_f64 v[235:236], v[241:242], v[235:236]
	v_mul_f64 v[241:242], v[130:131], s[4:5]
	v_fma_f64 v[88:89], v[110:111], s[36:37], v[249:250]
	v_add_f64 v[179:180], v[253:254], v[179:180]
	v_fma_f64 v[253:254], v[122:123], s[38:39], v[183:184]
	v_fma_f64 v[217:218], v[82:83], s[14:15], -v[247:248]
	v_add_f64 v[221:222], v[227:228], v[221:222]
	v_mul_f64 v[239:240], v[74:75], s[4:5]
	v_add_f64 v[235:236], v[251:252], v[235:236]
	v_fma_f64 v[223:224], v[124:125], s[6:7], v[241:242]
	v_add_f64 v[18:19], v[18:19], v[34:35]
	v_add_f64 v[88:89], v[88:89], v[179:180]
	buffer_load_dword v34, off, s[48:51], 0 ; 4-byte Folded Reload
	buffer_load_dword v35, off, s[48:51], 0 offset:4 ; 4-byte Folded Reload
	v_mul_f64 v[199:200], v[106:107], s[18:19]
	v_fma_f64 v[219:220], v[96:97], s[42:43], v[219:220]
	v_mul_f64 v[227:228], v[90:91], s[36:37]
	v_add_f64 v[179:180], v[253:254], v[235:236]
	v_fma_f64 v[235:236], v[78:79], s[38:39], v[225:226]
	v_add_f64 v[217:218], v[217:218], v[221:222]
	v_add_f64 v[177:178], v[223:224], v[88:89]
	v_fma_f64 v[88:89], v[122:123], s[4:5], v[183:184]
	v_fma_f64 v[183:184], v[94:95], s[40:41], v[245:246]
	v_mul_f64 v[223:224], v[106:107], s[20:21]
	v_fma_f64 v[247:248], v[70:71], s[6:7], v[239:240]
	v_add_f64 v[162:163], v[162:163], v[191:192]
	v_add_f64 v[235:236], v[26:27], v[235:236]
	v_mul_f64 v[189:190], v[70:71], s[30:31]
	v_mul_f64 v[205:206], v[90:91], s[6:7]
	;; [unrolled: 1-line block ×3, first 2 shown]
	v_add_f64 v[181:182], v[183:184], v[181:182]
	v_fma_f64 v[245:246], v[80:81], s[34:35], v[223:224]
	v_fma_f64 v[183:184], v[92:93], s[18:19], -v[243:244]
	v_mul_f64 v[243:244], v[76:77], s[24:25]
	v_fma_f64 v[251:252], v[86:87], s[44:45], v[227:228]
	v_add_f64 v[247:248], v[24:25], v[247:248]
	v_add_f64 v[166:167], v[166:167], v[199:200]
	;; [unrolled: 1-line block ×5, first 2 shown]
	v_fma_f64 v[219:220], v[110:111], s[36:37], -v[249:250]
	v_add_f64 v[183:184], v[183:184], v[217:218]
	v_mul_f64 v[217:218], v[84:85], s[42:43]
	v_fma_f64 v[245:246], v[72:73], s[20:21], v[243:244]
	v_add_f64 v[16:17], v[24:25], v[16:17]
	v_mul_f64 v[197:198], v[72:73], s[18:19]
	v_mul_f64 v[211:212], v[112:113], s[36:37]
	v_fma_f64 v[249:250], v[94:95], s[28:29], v[221:222]
	v_add_f64 v[235:236], v[251:252], v[235:236]
	v_fma_f64 v[241:242], v[124:125], s[6:7], -v[241:242]
	v_mul_f64 v[251:252], v[126:127], s[18:19]
	v_add_f64 v[219:220], v[219:220], v[183:184]
	v_add_f64 v[183:184], v[88:89], v[181:182]
	v_fma_f64 v[88:89], v[82:83], s[36:37], v[217:218]
	v_add_f64 v[245:246], v[245:246], v[247:248]
	v_mul_f64 v[247:248], v[102:103], s[22:23]
	v_add_f64 v[148:149], v[189:190], -v[148:149]
	v_add_f64 v[160:161], v[160:161], v[205:206]
	v_add_f64 v[162:163], v[166:167], v[162:163]
	;; [unrolled: 1-line block ×3, first 2 shown]
	v_mul_f64 v[203:204], v[82:83], s[6:7]
	v_mul_f64 v[229:230], v[126:127], s[14:15]
	v_add_f64 v[235:236], v[249:250], v[235:236]
	v_fma_f64 v[249:250], v[96:97], s[16:17], v[251:252]
	v_add_f64 v[181:182], v[241:242], v[219:220]
	v_mul_f64 v[241:242], v[108:109], s[40:41]
	v_add_f64 v[88:89], v[88:89], v[245:246]
	v_fma_f64 v[245:246], v[92:93], s[30:31], v[247:248]
	v_add_f64 v[150:151], v[197:198], -v[150:151]
	v_add_f64 v[148:149], v[24:25], v[148:149]
	v_add_f64 v[164:165], v[164:165], v[211:212]
	;; [unrolled: 1-line block ×5, first 2 shown]
	v_mul_f64 v[187:188], v[100:101], s[14:15]
	v_mul_f64 v[209:210], v[92:93], s[36:37]
	v_add_f64 v[235:236], v[249:250], v[235:236]
	v_mul_f64 v[249:250], v[134:135], s[20:21]
	v_mul_f64 v[191:192], v[130:131], s[46:47]
	v_add_f64 v[88:89], v[245:246], v[88:89]
	v_fma_f64 v[245:246], v[110:111], s[18:19], v[241:242]
	v_add_f64 v[154:155], v[203:204], -v[154:155]
	v_add_f64 v[148:149], v[150:151], v[148:149]
	v_add_f64 v[168:169], v[168:169], v[229:230]
	;; [unrolled: 1-line block ×5, first 2 shown]
	v_mul_f64 v[185:186], v[70:71], s[14:15]
	v_mul_f64 v[195:196], v[106:107], s[6:7]
	;; [unrolled: 1-line block ×3, first 2 shown]
	v_fma_f64 v[199:200], v[124:125], s[14:15], v[191:192]
	v_add_f64 v[88:89], v[245:246], v[88:89]
	v_add_f64 v[156:157], v[209:210], -v[156:157]
	v_add_f64 v[154:155], v[154:155], v[148:149]
	v_add_f64 v[170:171], v[170:171], v[249:250]
	;; [unrolled: 1-line block ×6, first 2 shown]
	v_mul_f64 v[193:194], v[72:73], s[6:7]
	v_mul_f64 v[201:202], v[90:91], s[18:19]
	v_add_f64 v[148:149], v[199:200], v[88:89]
	v_add_f64 v[88:89], v[215:216], -v[152:153]
	v_add_f64 v[156:157], v[156:157], v[154:155]
	v_add_f64 v[116:117], v[170:171], v[160:161]
	;; [unrolled: 1-line block ×4, first 2 shown]
	v_add_f64 v[104:105], v[185:186], -v[104:105]
	v_mul_f64 v[100:101], v[100:101], s[36:37]
	v_mul_f64 v[44:45], v[74:75], s[44:45]
	v_add_f64 v[18:19], v[18:19], v[58:59]
	v_add_f64 v[40:41], v[40:41], v[56:57]
	v_mul_f64 v[142:143], v[82:83], s[18:19]
	v_mul_f64 v[207:208], v[112:113], s[20:21]
	v_fma_f64 v[225:226], v[78:79], s[4:5], v[225:226]
	v_add_f64 v[88:89], v[88:89], v[156:157]
	v_add_f64 v[120:121], v[120:121], v[201:202]
	;; [unrolled: 1-line block ×3, first 2 shown]
	v_add_f64 v[98:99], v[193:194], -v[98:99]
	v_add_f64 v[104:105], v[24:25], v[104:105]
	v_mul_f64 v[106:107], v[106:107], s[14:15]
	v_fma_f64 v[156:157], v[78:79], s[42:43], v[100:101]
	v_fma_f64 v[78:79], v[78:79], s[44:45], v[100:101]
	v_mul_f64 v[76:77], v[76:77], s[8:9]
	v_fma_f64 v[56:57], v[70:71], s[36:37], -v[44:45]
	v_fma_f64 v[239:240], v[70:71], s[6:7], -v[239:240]
	v_fma_f64 v[44:45], v[70:71], s[36:37], v[44:45]
	v_add_f64 v[18:19], v[18:19], v[54:55]
	v_add_f64 v[40:41], v[40:41], v[52:53]
	v_mul_f64 v[213:214], v[126:127], s[30:31]
	v_add_f64 v[225:226], v[26:27], v[225:226]
	v_add_f64 v[132:133], v[132:133], v[207:208]
	;; [unrolled: 1-line block ×3, first 2 shown]
	v_add_f64 v[120:121], v[142:143], -v[144:145]
	v_add_f64 v[98:99], v[98:99], v[104:105]
	v_mul_f64 v[90:91], v[90:91], s[30:31]
	v_add_f64 v[142:143], v[26:27], v[156:157]
	v_mul_f64 v[58:59], v[84:85], s[22:23]
	v_fma_f64 v[70:71], v[80:81], s[8:9], v[106:107]
	v_add_f64 v[26:27], v[26:27], v[78:79]
	v_fma_f64 v[78:79], v[72:73], s[14:15], -v[76:77]
	v_add_f64 v[52:53], v[24:25], v[56:57]
	v_fma_f64 v[223:224], v[80:81], s[24:25], v[223:224]
	v_fma_f64 v[243:244], v[72:73], s[20:21], -v[243:244]
	v_add_f64 v[239:240], v[24:25], v[239:240]
	v_fma_f64 v[104:105], v[80:81], s[46:47], v[106:107]
	v_fma_f64 v[54:55], v[72:73], s[14:15], v[76:77]
	v_add_f64 v[24:25], v[24:25], v[44:45]
	v_add_f64 v[18:19], v[18:19], v[50:51]
	;; [unrolled: 1-line block ×3, first 2 shown]
	v_mul_f64 v[140:141], v[110:111], s[30:31]
	v_add_f64 v[138:139], v[138:139], v[213:214]
	v_add_f64 v[32:33], v[132:133], v[118:119]
	s_waitcnt vmcnt(0)
	v_add_f64 v[34:35], v[34:35], -v[114:115]
	v_add_f64 v[98:99], v[120:121], v[98:99]
	v_mul_f64 v[112:113], v[112:113], s[6:7]
	v_mul_f64 v[102:103], v[102:103], s[4:5]
	v_fma_f64 v[44:45], v[86:87], s[22:23], v[90:91]
	v_add_f64 v[26:27], v[70:71], v[26:27]
	v_fma_f64 v[56:57], v[82:83], s[30:31], -v[58:59]
	v_add_f64 v[48:49], v[78:79], v[52:53]
	v_add_f64 v[223:224], v[223:224], v[225:226]
	v_fma_f64 v[227:228], v[86:87], s[42:43], v[227:228]
	v_fma_f64 v[217:218], v[82:83], s[36:37], -v[217:218]
	v_add_f64 v[189:190], v[243:244], v[239:240]
	v_fma_f64 v[114:115], v[86:87], s[28:29], v[90:91]
	v_add_f64 v[104:105], v[104:105], v[142:143]
	v_fma_f64 v[50:51], v[82:83], s[30:31], v[58:59]
	v_add_f64 v[24:25], v[54:55], v[24:25]
	v_add_f64 v[18:19], v[18:19], v[38:39]
	;; [unrolled: 1-line block ×4, first 2 shown]
	v_add_f64 v[30:31], v[140:141], -v[128:129]
	v_add_f64 v[32:33], v[34:35], v[98:99]
	v_mul_f64 v[34:35], v[126:127], s[20:21]
	v_mul_f64 v[74:75], v[108:109], s[34:35]
	v_fma_f64 v[52:53], v[94:95], s[4:5], v[112:113]
	v_add_f64 v[26:27], v[44:45], v[26:27]
	v_fma_f64 v[44:45], v[92:93], s[6:7], -v[102:103]
	v_add_f64 v[38:39], v[56:57], v[48:49]
	v_mul_f64 v[233:234], v[134:135], s[36:37]
	v_fma_f64 v[166:167], v[94:95], s[22:23], v[221:222]
	v_add_f64 v[205:206], v[227:228], v[223:224]
	v_fma_f64 v[221:222], v[92:93], s[30:31], -v[247:248]
	v_add_f64 v[189:190], v[217:218], v[189:190]
	v_fma_f64 v[98:99], v[94:95], s[38:39], v[112:113]
	v_add_f64 v[104:105], v[114:115], v[104:105]
	v_fma_f64 v[40:41], v[92:93], s[6:7], v[102:103]
	v_add_f64 v[24:25], v[50:51], v[24:25]
	v_add_f64 v[18:19], v[18:19], v[22:23]
	;; [unrolled: 1-line block ×4, first 2 shown]
	v_mul_f64 v[32:33], v[134:135], s[18:19]
	v_fma_f64 v[42:43], v[96:97], s[24:25], v[34:35]
	v_mul_f64 v[46:47], v[130:131], s[16:17]
	v_fma_f64 v[34:35], v[96:97], s[34:35], v[34:35]
	v_add_f64 v[26:27], v[52:53], v[26:27]
	v_fma_f64 v[48:49], v[110:111], s[20:21], -v[74:75]
	v_add_f64 v[22:23], v[44:45], v[38:39]
	v_mul_f64 v[231:232], v[124:125], s[36:37]
	v_add_f64 v[146:147], v[146:147], v[233:234]
	v_mul_f64 v[237:238], v[124:125], s[20:21]
	v_mul_f64 v[219:220], v[134:135], s[14:15]
	v_fma_f64 v[162:163], v[96:97], s[40:41], v[251:252]
	v_add_f64 v[166:167], v[166:167], v[205:206]
	v_fma_f64 v[197:198], v[110:111], s[18:19], -v[241:242]
	v_add_f64 v[150:151], v[221:222], v[189:190]
	v_add_f64 v[98:99], v[98:99], v[104:105]
	v_fma_f64 v[36:37], v[110:111], s[20:21], v[74:75]
	v_add_f64 v[24:25], v[40:41], v[24:25]
	v_add_f64 v[14:15], v[18:19], v[14:15]
	;; [unrolled: 1-line block ×3, first 2 shown]
	v_fma_f64 v[38:39], v[122:123], s[16:17], v[32:33]
	v_add_f64 v[26:27], v[34:35], v[26:27]
	v_fma_f64 v[34:35], v[124:125], s[18:19], -v[46:47]
	v_add_f64 v[22:23], v[48:49], v[22:23]
	v_add_f64 v[16:17], v[146:147], v[28:29]
	v_add_f64 v[28:29], v[231:232], -v[136:137]
	v_add_f64 v[158:159], v[237:238], -v[158:159]
	v_fma_f64 v[164:165], v[122:123], s[46:47], v[219:220]
	v_add_f64 v[162:163], v[162:163], v[166:167]
	v_fma_f64 v[166:167], v[124:125], s[14:15], -v[191:192]
	v_add_f64 v[189:190], v[197:198], v[150:151]
	v_fma_f64 v[225:226], v[122:123], s[8:9], v[219:220]
	v_fma_f64 v[32:33], v[122:123], s[40:41], v[32:33]
	v_add_f64 v[40:41], v[42:43], v[98:99]
	v_fma_f64 v[42:43], v[124:125], s[18:19], v[46:47]
	v_add_f64 v[36:37], v[36:37], v[24:25]
	v_add_f64 v[20:21], v[14:15], v[10:11]
	;; [unrolled: 1-line block ×9, first 2 shown]
	s_movk_i32 s4, 0xc0
	v_mad_u32_u24 v8, v66, s4, v172
	v_add_f64 v[150:151], v[225:226], v[235:236]
	v_add_f64 v[24:25], v[32:33], v[40:41]
	v_add_f64 v[22:23], v[42:43], v[36:37]
	ds_write_b128 v8, v[18:21]
	ds_write_b128 v8, v[10:13] offset:16
	ds_write_b128 v8, v[14:17] offset:32
	;; [unrolled: 1-line block ×12, first 2 shown]
.LBB0_15:
	s_or_b64 exec, exec, s[26:27]
	s_load_dwordx2 s[4:5], s[2:3], 0x0
	s_movk_i32 s2, 0x4f
	v_mul_lo_u16_sdwa v8, v66, s2 dst_sel:DWORD dst_unused:UNUSED_PAD src0_sel:BYTE_0 src1_sel:DWORD
	v_lshrrev_b16_e32 v67, 10, v8
	v_mul_lo_u16_e32 v8, 13, v67
	v_sub_u16_e32 v108, v66, v8
	v_mov_b32_e32 v8, 9
	v_mul_u32_u24_sdwa v8, v108, v8 dst_sel:DWORD dst_unused:UNUSED_PAD src0_sel:BYTE_0 src1_sel:DWORD
	v_lshlrev_b32_e32 v44, 4, v8
	s_waitcnt lgkmcnt(0)
	; wave barrier
	s_waitcnt lgkmcnt(0)
	global_load_dwordx4 v[8:11], v44, s[12:13]
	global_load_dwordx4 v[12:15], v44, s[12:13] offset:16
	global_load_dwordx4 v[16:19], v44, s[12:13] offset:32
	;; [unrolled: 1-line block ×8, first 2 shown]
	ds_read_b128 v[44:47], v172
	ds_read_b128 v[48:51], v172 offset:832
	ds_read_b128 v[52:55], v172 offset:1664
	;; [unrolled: 1-line block ×9, first 2 shown]
	s_mov_b32 s2, 0x134454ff
	s_mov_b32 s3, 0x3fee6f0e
	;; [unrolled: 1-line block ×12, first 2 shown]
	s_waitcnt lgkmcnt(0)
	; wave barrier
	s_waitcnt lgkmcnt(0)
	v_cmp_gt_u32_e32 vcc, 26, v66
	s_waitcnt vmcnt(8)
	v_mul_f64 v[90:91], v[50:51], v[10:11]
	v_mul_f64 v[10:11], v[48:49], v[10:11]
	s_waitcnt vmcnt(7)
	v_mul_f64 v[92:93], v[54:55], v[14:15]
	v_mul_f64 v[14:15], v[52:53], v[14:15]
	;; [unrolled: 3-line block ×9, first 2 shown]
	v_fma_f64 v[48:49], v[48:49], v[8:9], -v[90:91]
	v_fma_f64 v[8:9], v[50:51], v[8:9], v[10:11]
	v_fma_f64 v[10:11], v[52:53], v[12:13], -v[92:93]
	v_fma_f64 v[12:13], v[54:55], v[12:13], v[14:15]
	;; [unrolled: 2-line block ×6, first 2 shown]
	v_fma_f64 v[30:31], v[84:85], v[36:37], v[38:39]
	v_fma_f64 v[38:39], v[78:79], v[32:33], -v[102:103]
	v_fma_f64 v[32:33], v[80:81], v[32:33], v[34:35]
	v_fma_f64 v[34:35], v[82:83], v[36:37], -v[104:105]
	v_fma_f64 v[36:37], v[86:87], v[40:41], -v[106:107]
	v_fma_f64 v[40:41], v[88:89], v[40:41], v[42:43]
	v_add_f64 v[42:43], v[44:45], v[10:11]
	v_add_f64 v[50:51], v[18:19], v[26:27]
	v_add_f64 v[52:53], v[12:13], -v[30:31]
	v_add_f64 v[56:57], v[10:11], -v[18:19]
	;; [unrolled: 1-line block ×4, first 2 shown]
	v_add_f64 v[60:61], v[10:11], v[34:35]
	v_add_f64 v[72:73], v[46:47], v[12:13]
	;; [unrolled: 1-line block ×3, first 2 shown]
	v_add_f64 v[76:77], v[18:19], -v[26:27]
	v_add_f64 v[82:83], v[12:13], v[30:31]
	v_add_f64 v[18:19], v[42:43], v[18:19]
	v_fma_f64 v[42:43], v[50:51], -0.5, v[44:45]
	v_add_f64 v[54:55], v[20:21], -v[28:29]
	v_add_f64 v[70:71], v[26:27], -v[34:35]
	;; [unrolled: 1-line block ×5, first 2 shown]
	v_add_f64 v[86:87], v[48:49], v[14:15]
	v_add_f64 v[50:51], v[56:57], v[58:59]
	v_fma_f64 v[44:45], v[60:61], -0.5, v[44:45]
	v_add_f64 v[20:21], v[72:73], v[20:21]
	v_fma_f64 v[58:59], v[74:75], -0.5, v[46:47]
	v_fma_f64 v[46:47], v[82:83], -0.5, v[46:47]
	v_add_f64 v[18:19], v[18:19], v[26:27]
	v_fma_f64 v[26:27], v[52:53], s[2:3], v[42:43]
	v_add_f64 v[80:81], v[30:31], -v[28:29]
	v_add_f64 v[84:85], v[28:29], -v[30:31]
	v_add_f64 v[56:57], v[62:63], v[70:71]
	v_add_f64 v[62:63], v[86:87], v[22:23]
	v_fma_f64 v[42:43], v[52:53], s[14:15], v[42:43]
	v_fma_f64 v[72:73], v[54:55], s[14:15], v[44:45]
	;; [unrolled: 1-line block ×3, first 2 shown]
	v_add_f64 v[20:21], v[20:21], v[28:29]
	v_fma_f64 v[28:29], v[10:11], s[14:15], v[58:59]
	v_fma_f64 v[58:59], v[10:11], s[2:3], v[58:59]
	;; [unrolled: 1-line block ×5, first 2 shown]
	v_add_f64 v[88:89], v[22:23], v[38:39]
	v_add_f64 v[98:99], v[14:15], v[36:37]
	;; [unrolled: 1-line block ×3, first 2 shown]
	v_fma_f64 v[42:43], v[54:55], s[16:17], v[42:43]
	v_fma_f64 v[54:55], v[52:53], s[6:7], v[72:73]
	;; [unrolled: 1-line block ×4, first 2 shown]
	v_add_f64 v[52:53], v[18:19], v[34:35]
	v_add_f64 v[72:73], v[20:21], v[30:31]
	v_fma_f64 v[18:19], v[76:77], s[6:7], v[58:59]
	v_fma_f64 v[58:59], v[50:51], s[8:9], v[26:27]
	;; [unrolled: 1-line block ×3, first 2 shown]
	v_add_f64 v[12:13], v[12:13], v[84:85]
	v_fma_f64 v[10:11], v[10:11], s[6:7], v[46:47]
	v_add_f64 v[26:27], v[62:63], v[38:39]
	v_add_f64 v[34:35], v[24:25], v[32:33]
	v_add_f64 v[90:91], v[16:17], -v[40:41]
	v_fma_f64 v[70:71], v[88:89], -0.5, v[48:49]
	v_fma_f64 v[42:43], v[50:51], s[8:9], v[42:43]
	v_fma_f64 v[50:51], v[56:57], s[8:9], v[54:55]
	;; [unrolled: 1-line block ×5, first 2 shown]
	v_fma_f64 v[18:19], v[98:99], -0.5, v[48:49]
	v_fma_f64 v[46:47], v[12:13], s[8:9], v[20:21]
	v_fma_f64 v[10:11], v[12:13], s[8:9], v[10:11]
	v_add_f64 v[12:13], v[26:27], v[36:37]
	v_add_f64 v[26:27], v[16:17], v[40:41]
	v_fma_f64 v[34:35], v[34:35], -0.5, v[8:9]
	v_add_f64 v[48:49], v[14:15], -v[36:37]
	v_add_f64 v[94:95], v[14:15], -v[22:23]
	;; [unrolled: 1-line block ×3, first 2 shown]
	v_fma_f64 v[78:79], v[90:91], s[2:3], v[70:71]
	v_fma_f64 v[20:21], v[90:91], s[14:15], v[70:71]
	v_add_f64 v[62:63], v[8:9], v[16:17]
	v_add_f64 v[70:71], v[22:23], -v[38:39]
	v_fma_f64 v[8:9], v[26:27], -0.5, v[8:9]
	v_add_f64 v[14:15], v[22:23], -v[14:15]
	v_add_f64 v[22:23], v[38:39], -v[36:37]
	v_fma_f64 v[26:27], v[48:49], s[14:15], v[34:35]
	v_add_f64 v[36:37], v[16:17], -v[24:25]
	v_add_f64 v[38:39], v[40:41], -v[32:33]
	;; [unrolled: 1-line block ×3, first 2 shown]
	v_add_f64 v[62:63], v[62:63], v[24:25]
	v_add_f64 v[16:17], v[24:25], -v[16:17]
	v_add_f64 v[24:25], v[32:33], -v[40:41]
	v_fma_f64 v[74:75], v[70:71], s[2:3], v[8:9]
	v_fma_f64 v[26:27], v[70:71], s[16:17], v[26:27]
	;; [unrolled: 1-line block ×3, first 2 shown]
	v_add_f64 v[36:37], v[36:37], v[38:39]
	v_fma_f64 v[44:45], v[92:93], s[14:15], v[18:19]
	v_fma_f64 v[18:19], v[92:93], s[2:3], v[18:19]
	;; [unrolled: 1-line block ×4, first 2 shown]
	v_add_f64 v[30:31], v[94:95], v[96:97]
	v_add_f64 v[16:17], v[16:17], v[24:25]
	;; [unrolled: 1-line block ×3, first 2 shown]
	v_fma_f64 v[26:27], v[36:37], s[8:9], v[26:27]
	v_fma_f64 v[20:21], v[92:93], s[16:17], v[20:21]
	;; [unrolled: 1-line block ×3, first 2 shown]
	v_add_f64 v[14:15], v[14:15], v[22:23]
	v_fma_f64 v[18:19], v[90:91], s[16:17], v[18:19]
	v_fma_f64 v[22:23], v[48:49], s[16:17], v[74:75]
	;; [unrolled: 1-line block ×5, first 2 shown]
	v_add_f64 v[38:39], v[24:25], v[40:41]
	v_mul_f64 v[24:25], v[26:27], s[6:7]
	v_fma_f64 v[30:31], v[30:31], s[8:9], v[20:21]
	v_fma_f64 v[20:21], v[14:15], s[8:9], v[44:45]
	;; [unrolled: 1-line block ×6, first 2 shown]
	v_add_f64 v[16:17], v[52:53], v[12:13]
	v_fma_f64 v[40:41], v[28:29], s[18:19], v[24:25]
	v_mul_f64 v[24:25], v[28:29], s[16:17]
	v_mul_f64 v[28:29], v[20:21], s[14:15]
	;; [unrolled: 1-line block ×7, first 2 shown]
	v_fma_f64 v[74:75], v[26:27], s[18:19], v[24:25]
	v_fma_f64 v[76:77], v[18:19], s[8:9], v[28:29]
	v_fma_f64 v[8:9], v[8:9], s[2:3], -v[34:35]
	v_fma_f64 v[62:63], v[20:21], s[8:9], v[32:33]
	v_fma_f64 v[14:15], v[14:15], s[14:15], -v[44:45]
	v_fma_f64 v[70:71], v[22:23], s[6:7], -v[36:37]
	;; [unrolled: 1-line block ×3, first 2 shown]
	v_add_f64 v[18:19], v[72:73], v[38:39]
	v_add_f64 v[20:21], v[58:59], v[40:41]
	;; [unrolled: 1-line block ×9, first 2 shown]
	v_add_f64 v[36:37], v[52:53], -v[12:13]
	v_add_f64 v[38:39], v[72:73], -v[38:39]
	;; [unrolled: 1-line block ×4, first 2 shown]
	v_mov_b32_e32 v49, 4
	v_add_f64 v[40:41], v[58:59], -v[40:41]
	v_add_f64 v[12:13], v[42:43], -v[70:71]
	;; [unrolled: 1-line block ×3, first 2 shown]
	v_mul_u32_u24_e32 v48, 0x820, v67
	v_lshlrev_b32_sdwa v49, v49, v108 dst_sel:DWORD dst_unused:UNUSED_PAD src0_sel:DWORD src1_sel:BYTE_0
	v_add_f64 v[44:45], v[50:51], -v[62:63]
	v_add_f64 v[46:47], v[46:47], -v[76:77]
	v_add3_u32 v48, 0, v48, v49
	v_add_f64 v[8:9], v[54:55], -v[8:9]
	ds_write_b128 v48, v[16:19]
	ds_write_b128 v48, v[20:23] offset:208
	ds_write_b128 v48, v[24:27] offset:416
	;; [unrolled: 1-line block ×9, first 2 shown]
	s_waitcnt lgkmcnt(0)
	; wave barrier
	s_waitcnt lgkmcnt(0)
	ds_read_b128 v[16:19], v172
	ds_read_b128 v[20:23], v172 offset:832
	ds_read_b128 v[36:39], v172 offset:2080
	;; [unrolled: 1-line block ×7, first 2 shown]
	s_and_saveexec_b64 s[2:3], vcc
	s_cbranch_execz .LBB0_17
; %bb.16:
	ds_read_b128 v[8:11], v172 offset:1664
	ds_read_b128 v[12:15], v172 offset:3744
	;; [unrolled: 1-line block ×4, first 2 shown]
.LBB0_17:
	s_or_b64 exec, exec, s[2:3]
	v_mul_u32_u24_e32 v48, 3, v66
	v_lshlrev_b32_e32 v48, 4, v48
	v_mov_b32_e32 v49, s13
	v_add_co_u32_e64 v63, s[2:3], s12, v48
	v_addc_co_u32_e64 v67, s[2:3], 0, v49, s[2:3]
	s_movk_i32 s2, 0x1000
	v_add_co_u32_e64 v61, s[2:3], s2, v63
	s_movk_i32 s6, 0x1110
	v_addc_co_u32_e64 v62, s[2:3], 0, v67, s[2:3]
	global_load_dwordx4 v[49:52], v48, s[12:13] offset:1904
	global_load_dwordx4 v[53:56], v48, s[12:13] offset:1888
	;; [unrolled: 1-line block ×3, first 2 shown]
	global_load_dwordx4 v[70:73], v[61:62], off offset:272
	v_add_co_u32_e64 v61, s[2:3], s6, v63
	v_addc_co_u32_e64 v62, s[2:3], 0, v67, s[2:3]
	global_load_dwordx4 v[74:77], v[61:62], off offset:16
	global_load_dwordx4 v[78:81], v[61:62], off offset:32
	v_mov_b32_e32 v48, 0
	s_waitcnt lgkmcnt(0)
	; wave barrier
	s_waitcnt vmcnt(5) lgkmcnt(0)
	v_mul_f64 v[84:85], v[46:47], v[51:52]
	s_waitcnt vmcnt(4)
	v_mul_f64 v[82:83], v[42:43], v[55:56]
	s_waitcnt vmcnt(3)
	v_mul_f64 v[61:62], v[38:39], v[59:60]
	v_mul_f64 v[59:60], v[36:37], v[59:60]
	;; [unrolled: 1-line block ×4, first 2 shown]
	s_waitcnt vmcnt(2)
	v_mul_f64 v[86:87], v[26:27], v[72:73]
	v_mul_f64 v[72:73], v[24:25], v[72:73]
	s_waitcnt vmcnt(1)
	v_mul_f64 v[88:89], v[30:31], v[76:77]
	v_mul_f64 v[76:77], v[28:29], v[76:77]
	;; [unrolled: 3-line block ×3, first 2 shown]
	v_fma_f64 v[36:37], v[36:37], v[57:58], -v[61:62]
	v_fma_f64 v[38:39], v[38:39], v[57:58], v[59:60]
	v_fma_f64 v[40:41], v[40:41], v[53:54], -v[82:83]
	v_fma_f64 v[42:43], v[42:43], v[53:54], v[55:56]
	v_fma_f64 v[44:45], v[44:45], v[49:50], -v[84:85]
	v_fma_f64 v[46:47], v[46:47], v[49:50], v[51:52]
	v_fma_f64 v[24:25], v[24:25], v[70:71], -v[86:87]
	v_fma_f64 v[26:27], v[26:27], v[70:71], v[72:73]
	v_fma_f64 v[28:29], v[28:29], v[74:75], -v[88:89]
	v_fma_f64 v[30:31], v[30:31], v[74:75], v[76:77]
	v_fma_f64 v[32:33], v[32:33], v[78:79], -v[90:91]
	v_fma_f64 v[34:35], v[34:35], v[78:79], v[80:81]
	v_add_f64 v[40:41], v[16:17], -v[40:41]
	v_add_f64 v[42:43], v[18:19], -v[42:43]
	;; [unrolled: 1-line block ×8, first 2 shown]
	v_fma_f64 v[53:54], v[16:17], 2.0, -v[40:41]
	v_fma_f64 v[55:56], v[18:19], 2.0, -v[42:43]
	;; [unrolled: 1-line block ×8, first 2 shown]
	v_add_f64 v[16:17], v[40:41], -v[46:47]
	v_add_f64 v[18:19], v[42:43], v[44:45]
	v_add_f64 v[20:21], v[49:50], -v[30:31]
	v_add_f64 v[22:23], v[51:52], v[28:29]
	v_add_f64 v[24:25], v[53:54], -v[32:33]
	v_add_f64 v[26:27], v[55:56], -v[34:35]
	;; [unrolled: 1-line block ×4, first 2 shown]
	v_fma_f64 v[32:33], v[40:41], 2.0, -v[16:17]
	v_fma_f64 v[34:35], v[42:43], 2.0, -v[18:19]
	;; [unrolled: 1-line block ×8, first 2 shown]
	ds_write_b128 v172, v[16:19] offset:6240
	ds_write_b128 v172, v[32:35] offset:2080
	;; [unrolled: 1-line block ×5, first 2 shown]
	ds_write_b128 v172, v[40:43]
	ds_write_b128 v172, v[44:47] offset:832
	ds_write_b128 v172, v[20:23] offset:7072
	s_and_saveexec_b64 s[2:3], vcc
	s_cbranch_execz .LBB0_19
; %bb.18:
	v_add_u32_e32 v16, 0x68, v66
	v_subrev_u32_e32 v17, 26, v66
	v_cndmask_b32_e32 v16, v17, v16, vcc
	v_mul_i32_i24_e32 v47, 3, v16
	v_lshlrev_b64 v[16:17], 4, v[47:48]
	v_mov_b32_e32 v18, s13
	v_add_co_u32_e32 v28, vcc, s12, v16
	v_addc_co_u32_e32 v29, vcc, v18, v17, vcc
	global_load_dwordx4 v[16:19], v[28:29], off offset:1888
	global_load_dwordx4 v[20:23], v[28:29], off offset:1872
	;; [unrolled: 1-line block ×3, first 2 shown]
	s_waitcnt vmcnt(2)
	v_mul_f64 v[28:29], v[0:1], v[18:19]
	s_waitcnt vmcnt(1)
	v_mul_f64 v[30:31], v[14:15], v[22:23]
	v_mul_f64 v[22:23], v[12:13], v[22:23]
	s_waitcnt vmcnt(0)
	v_mul_f64 v[32:33], v[4:5], v[26:27]
	v_mul_f64 v[18:19], v[2:3], v[18:19]
	;; [unrolled: 1-line block ×3, first 2 shown]
	v_fma_f64 v[2:3], v[2:3], v[16:17], v[28:29]
	v_fma_f64 v[12:13], v[12:13], v[20:21], -v[30:31]
	v_fma_f64 v[14:15], v[14:15], v[20:21], v[22:23]
	v_fma_f64 v[6:7], v[6:7], v[24:25], v[32:33]
	v_fma_f64 v[0:1], v[0:1], v[16:17], -v[18:19]
	v_fma_f64 v[4:5], v[4:5], v[24:25], -v[26:27]
	v_add_f64 v[16:17], v[10:11], -v[2:3]
	v_add_f64 v[6:7], v[14:15], -v[6:7]
	;; [unrolled: 1-line block ×4, first 2 shown]
	v_fma_f64 v[20:21], v[10:11], 2.0, -v[16:17]
	v_fma_f64 v[4:5], v[14:15], 2.0, -v[6:7]
	;; [unrolled: 1-line block ×4, first 2 shown]
	v_add_f64 v[2:3], v[16:17], v[0:1]
	v_add_f64 v[0:1], v[18:19], -v[6:7]
	v_add_f64 v[6:7], v[20:21], -v[4:5]
	;; [unrolled: 1-line block ×3, first 2 shown]
	v_fma_f64 v[10:11], v[16:17], 2.0, -v[2:3]
	v_fma_f64 v[8:9], v[18:19], 2.0, -v[0:1]
	;; [unrolled: 1-line block ×4, first 2 shown]
	ds_write_b128 v172, v[8:11] offset:3744
	ds_write_b128 v172, v[4:7] offset:5824
	;; [unrolled: 1-line block ×4, first 2 shown]
.LBB0_19:
	s_or_b64 exec, exec, s[2:3]
	s_waitcnt lgkmcnt(0)
	; wave barrier
	s_waitcnt lgkmcnt(0)
	ds_read_b128 v[0:3], v172
	s_add_u32 s6, s12, 0x1fb0
	v_lshlrev_b32_e32 v4, 4, v66
	s_addc_u32 s7, s13, 0
	v_sub_u32_e32 v10, 0, v4
	v_cmp_ne_u32_e32 vcc, 0, v66
                                        ; implicit-def: $vgpr6_vgpr7
                                        ; implicit-def: $vgpr4_vgpr5
                                        ; implicit-def: $vgpr8_vgpr9
	s_and_saveexec_b64 s[2:3], vcc
	s_xor_b64 s[2:3], exec, s[2:3]
	s_cbranch_execz .LBB0_21
; %bb.20:
	v_mov_b32_e32 v67, 0
	v_lshlrev_b64 v[4:5], 4, v[66:67]
	v_mov_b32_e32 v6, s7
	v_add_co_u32_e32 v4, vcc, s6, v4
	v_addc_co_u32_e32 v5, vcc, v6, v5, vcc
	global_load_dwordx4 v[6:9], v[4:5], off
	ds_read_b128 v[11:14], v10 offset:8320
	s_waitcnt lgkmcnt(0)
	v_add_f64 v[4:5], v[0:1], -v[11:12]
	v_add_f64 v[15:16], v[2:3], v[13:14]
	v_add_f64 v[2:3], v[2:3], -v[13:14]
	v_add_f64 v[0:1], v[0:1], v[11:12]
	v_mul_f64 v[4:5], v[4:5], 0.5
	v_mul_f64 v[13:14], v[15:16], 0.5
	;; [unrolled: 1-line block ×3, first 2 shown]
	s_waitcnt vmcnt(0)
	v_mul_f64 v[11:12], v[4:5], v[8:9]
	v_fma_f64 v[15:16], v[13:14], v[8:9], v[2:3]
	v_fma_f64 v[2:3], v[13:14], v[8:9], -v[2:3]
	v_fma_f64 v[8:9], v[0:1], 0.5, v[11:12]
	v_fma_f64 v[0:1], v[0:1], 0.5, -v[11:12]
	v_fma_f64 v[11:12], -v[6:7], v[4:5], v[15:16]
	v_fma_f64 v[2:3], -v[6:7], v[4:5], v[2:3]
	ds_write_b64 v172, v[11:12] offset:8
	ds_write_b64 v10, v[2:3] offset:8328
	v_fma_f64 v[4:5], v[13:14], v[6:7], v[8:9]
	v_mov_b32_e32 v8, v66
	v_fma_f64 v[6:7], -v[13:14], v[6:7], v[0:1]
	v_mov_b32_e32 v9, v67
                                        ; implicit-def: $vgpr0_vgpr1
.LBB0_21:
	s_andn2_saveexec_b64 s[2:3], s[2:3]
	s_cbranch_execz .LBB0_23
; %bb.22:
	s_mov_b32 s8, 0
	s_mov_b32 s9, s8
	v_mov_b32_e32 v8, s8
	s_waitcnt lgkmcnt(0)
	v_add_f64 v[4:5], v[0:1], v[2:3]
	v_mov_b32_e32 v9, s9
	v_add_f64 v[6:7], v[0:1], -v[2:3]
	ds_write_b64 v172, v[8:9] offset:8
	ds_write_b64 v10, v[8:9] offset:8328
	v_mov_b32_e32 v2, 0
	ds_read_b64 v[0:1], v2 offset:4168
	v_mov_b32_e32 v8, 0
	v_mov_b32_e32 v9, 0
	s_waitcnt lgkmcnt(0)
	v_xor_b32_e32 v1, 0x80000000, v1
	ds_write_b64 v2, v[0:1] offset:4168
.LBB0_23:
	s_or_b64 exec, exec, s[2:3]
	s_waitcnt lgkmcnt(0)
	v_lshlrev_b64 v[0:1], 4, v[8:9]
	v_mov_b32_e32 v2, s7
	v_add_co_u32_e32 v19, vcc, s6, v0
	v_addc_co_u32_e32 v20, vcc, v2, v1, vcc
	global_load_dwordx4 v[0:3], v[19:20], off offset:832
	global_load_dwordx4 v[11:14], v[19:20], off offset:1664
	ds_write_b64 v172, v[4:5]
	ds_write_b64 v10, v[6:7] offset:8320
	ds_read_b128 v[4:7], v172 offset:832
	ds_read_b128 v[15:18], v10 offset:7488
	s_waitcnt lgkmcnt(0)
	v_add_f64 v[8:9], v[4:5], -v[15:16]
	v_add_f64 v[21:22], v[6:7], v[17:18]
	v_add_f64 v[6:7], v[6:7], -v[17:18]
	v_add_f64 v[4:5], v[4:5], v[15:16]
	v_mul_f64 v[8:9], v[8:9], 0.5
	v_mul_f64 v[17:18], v[21:22], 0.5
	;; [unrolled: 1-line block ×3, first 2 shown]
	s_waitcnt vmcnt(1)
	v_mul_f64 v[15:16], v[8:9], v[2:3]
	v_fma_f64 v[21:22], v[17:18], v[2:3], v[6:7]
	v_fma_f64 v[6:7], v[17:18], v[2:3], -v[6:7]
	v_fma_f64 v[23:24], v[4:5], 0.5, v[15:16]
	v_fma_f64 v[15:16], v[4:5], 0.5, -v[15:16]
	global_load_dwordx4 v[2:5], v[19:20], off offset:2496
	v_fma_f64 v[21:22], -v[0:1], v[8:9], v[21:22]
	v_fma_f64 v[8:9], -v[0:1], v[8:9], v[6:7]
	v_fma_f64 v[23:24], v[17:18], v[0:1], v[23:24]
	v_fma_f64 v[6:7], -v[17:18], v[0:1], v[15:16]
	ds_write2_b64 v172, v[23:24], v[21:22] offset0:104 offset1:105
	ds_write_b128 v10, v[6:9] offset:7488
	ds_read_b128 v[6:9], v172 offset:1664
	ds_read_b128 v[15:18], v10 offset:6656
	s_waitcnt lgkmcnt(0)
	v_add_f64 v[0:1], v[6:7], -v[15:16]
	v_add_f64 v[21:22], v[8:9], v[17:18]
	v_add_f64 v[8:9], v[8:9], -v[17:18]
	v_add_f64 v[6:7], v[6:7], v[15:16]
	v_mul_f64 v[0:1], v[0:1], 0.5
	v_mul_f64 v[17:18], v[21:22], 0.5
	;; [unrolled: 1-line block ×3, first 2 shown]
	s_waitcnt vmcnt(1)
	v_mul_f64 v[15:16], v[0:1], v[13:14]
	v_fma_f64 v[21:22], v[17:18], v[13:14], v[8:9]
	v_fma_f64 v[13:14], v[17:18], v[13:14], -v[8:9]
	v_fma_f64 v[23:24], v[6:7], 0.5, v[15:16]
	v_fma_f64 v[15:16], v[6:7], 0.5, -v[15:16]
	global_load_dwordx4 v[6:9], v[19:20], off offset:3328
	v_fma_f64 v[19:20], -v[11:12], v[0:1], v[21:22]
	v_fma_f64 v[13:14], -v[11:12], v[0:1], v[13:14]
	v_fma_f64 v[0:1], v[17:18], v[11:12], v[23:24]
	v_fma_f64 v[11:12], -v[17:18], v[11:12], v[15:16]
	ds_write2_b64 v172, v[0:1], v[19:20] offset0:208 offset1:209
	ds_write_b128 v10, v[11:14] offset:6656
	ds_read_b128 v[11:14], v172 offset:2496
	ds_read_b128 v[15:18], v10 offset:5824
	s_waitcnt lgkmcnt(0)
	v_add_f64 v[0:1], v[11:12], -v[15:16]
	v_add_f64 v[19:20], v[13:14], v[17:18]
	v_add_f64 v[13:14], v[13:14], -v[17:18]
	v_add_f64 v[11:12], v[11:12], v[15:16]
	v_mul_f64 v[0:1], v[0:1], 0.5
	v_mul_f64 v[17:18], v[19:20], 0.5
	;; [unrolled: 1-line block ×3, first 2 shown]
	s_waitcnt vmcnt(1)
	v_mul_f64 v[15:16], v[0:1], v[4:5]
	v_fma_f64 v[19:20], v[17:18], v[4:5], v[13:14]
	v_fma_f64 v[4:5], v[17:18], v[4:5], -v[13:14]
	v_fma_f64 v[13:14], v[11:12], 0.5, v[15:16]
	v_fma_f64 v[11:12], v[11:12], 0.5, -v[15:16]
	v_fma_f64 v[15:16], -v[2:3], v[0:1], v[19:20]
	v_fma_f64 v[4:5], -v[2:3], v[0:1], v[4:5]
	v_fma_f64 v[0:1], v[17:18], v[2:3], v[13:14]
	v_fma_f64 v[2:3], -v[17:18], v[2:3], v[11:12]
	v_add_u32_e32 v17, 0x800, v172
	ds_write2_b64 v17, v[0:1], v[15:16] offset0:56 offset1:57
	ds_write_b128 v10, v[2:5] offset:5824
	ds_read_b128 v[0:3], v172 offset:3328
	ds_read_b128 v[11:14], v10 offset:4992
	s_waitcnt lgkmcnt(0)
	v_add_f64 v[4:5], v[0:1], -v[11:12]
	v_add_f64 v[15:16], v[2:3], v[13:14]
	v_add_f64 v[2:3], v[2:3], -v[13:14]
	v_add_f64 v[0:1], v[0:1], v[11:12]
	v_mul_f64 v[4:5], v[4:5], 0.5
	v_mul_f64 v[13:14], v[15:16], 0.5
	;; [unrolled: 1-line block ×3, first 2 shown]
	s_waitcnt vmcnt(0)
	v_mul_f64 v[11:12], v[4:5], v[8:9]
	v_fma_f64 v[15:16], v[13:14], v[8:9], v[2:3]
	v_fma_f64 v[2:3], v[13:14], v[8:9], -v[2:3]
	v_fma_f64 v[8:9], v[0:1], 0.5, v[11:12]
	v_fma_f64 v[0:1], v[0:1], 0.5, -v[11:12]
	v_fma_f64 v[11:12], -v[6:7], v[4:5], v[15:16]
	v_fma_f64 v[2:3], -v[6:7], v[4:5], v[2:3]
	v_fma_f64 v[4:5], v[13:14], v[6:7], v[8:9]
	v_fma_f64 v[0:1], -v[13:14], v[6:7], v[0:1]
	ds_write2_b64 v17, v[4:5], v[11:12] offset0:160 offset1:161
	ds_write_b128 v10, v[0:3] offset:4992
	s_waitcnt lgkmcnt(0)
	; wave barrier
	s_waitcnt lgkmcnt(0)
	s_and_saveexec_b64 s[2:3], s[0:1]
	s_cbranch_execz .LBB0_26
; %bb.24:
	v_mul_lo_u32 v2, s5, v68
	v_mul_lo_u32 v3, s4, v69
	v_mad_u64_u32 v[0:1], s[0:1], s4, v68, 0
	v_mov_b32_e32 v6, s11
	v_lshl_add_u32 v12, v66, 4, 0
	v_add3_u32 v1, v1, v3, v2
	v_lshlrev_b64 v[0:1], 4, v[0:1]
	v_mov_b32_e32 v67, 0
	v_add_co_u32_e32 v0, vcc, s10, v0
	v_addc_co_u32_e32 v8, vcc, v6, v1, vcc
	v_lshlrev_b64 v[6:7], 4, v[64:65]
	ds_read_b128 v[2:5], v12
	v_add_co_u32_e32 v1, vcc, v0, v6
	v_addc_co_u32_e32 v0, vcc, v8, v7, vcc
	v_lshlrev_b64 v[6:7], 4, v[66:67]
	v_add_co_u32_e32 v10, vcc, v1, v6
	v_addc_co_u32_e32 v11, vcc, v0, v7, vcc
	ds_read_b128 v[6:9], v12 offset:832
	s_waitcnt lgkmcnt(1)
	global_store_dwordx4 v[10:11], v[2:5], off
	s_nop 0
	v_add_u32_e32 v2, 52, v66
	v_mov_b32_e32 v3, v67
	v_lshlrev_b64 v[2:3], 4, v[2:3]
	v_add_co_u32_e32 v2, vcc, v1, v2
	v_addc_co_u32_e32 v3, vcc, v0, v3, vcc
	s_waitcnt lgkmcnt(0)
	global_store_dwordx4 v[2:3], v[6:9], off
	ds_read_b128 v[2:5], v12 offset:1664
	v_add_u32_e32 v6, 0x68, v66
	v_mov_b32_e32 v7, v67
	v_lshlrev_b64 v[6:7], 4, v[6:7]
	v_add_co_u32_e32 v10, vcc, v1, v6
	v_addc_co_u32_e32 v11, vcc, v0, v7, vcc
	ds_read_b128 v[6:9], v12 offset:2496
	s_waitcnt lgkmcnt(1)
	global_store_dwordx4 v[10:11], v[2:5], off
	s_nop 0
	v_add_u32_e32 v2, 0x9c, v66
	v_mov_b32_e32 v3, v67
	v_lshlrev_b64 v[2:3], 4, v[2:3]
	v_add_co_u32_e32 v2, vcc, v1, v2
	v_addc_co_u32_e32 v3, vcc, v0, v3, vcc
	s_waitcnt lgkmcnt(0)
	global_store_dwordx4 v[2:3], v[6:9], off
	ds_read_b128 v[2:5], v12 offset:3328
	v_add_u32_e32 v6, 0xd0, v66
	v_mov_b32_e32 v7, v67
	;; [unrolled: 17-line block ×4, first 2 shown]
	v_lshlrev_b64 v[6:7], 4, v[6:7]
	v_add_co_u32_e32 v10, vcc, v1, v6
	v_addc_co_u32_e32 v11, vcc, v0, v7, vcc
	ds_read_b128 v[6:9], v12 offset:7488
	s_waitcnt lgkmcnt(1)
	global_store_dwordx4 v[10:11], v[2:5], off
	s_nop 0
	v_add_u32_e32 v2, 0x1d4, v66
	v_mov_b32_e32 v3, v67
	v_lshlrev_b64 v[2:3], 4, v[2:3]
	v_add_co_u32_e32 v2, vcc, v1, v2
	v_addc_co_u32_e32 v3, vcc, v0, v3, vcc
	v_cmp_eq_u32_e32 vcc, 51, v66
	s_waitcnt lgkmcnt(0)
	global_store_dwordx4 v[2:3], v[6:9], off
	s_and_b64 exec, exec, vcc
	s_cbranch_execz .LBB0_26
; %bb.25:
	ds_read_b128 v[2:5], v67 offset:8320
	v_add_co_u32_e32 v6, vcc, 0x2000, v1
	v_addc_co_u32_e32 v7, vcc, 0, v0, vcc
	s_waitcnt lgkmcnt(0)
	global_store_dwordx4 v[6:7], v[2:5], off offset:128
.LBB0_26:
	s_endpgm
	.section	.rodata,"a",@progbits
	.p2align	6, 0x0
	.amdhsa_kernel fft_rtc_fwd_len520_factors_13_10_4_wgs_52_tpt_52_dp_op_CI_CI_unitstride_sbrr_R2C_dirReg
		.amdhsa_group_segment_fixed_size 0
		.amdhsa_private_segment_fixed_size 12
		.amdhsa_kernarg_size 104
		.amdhsa_user_sgpr_count 6
		.amdhsa_user_sgpr_private_segment_buffer 1
		.amdhsa_user_sgpr_dispatch_ptr 0
		.amdhsa_user_sgpr_queue_ptr 0
		.amdhsa_user_sgpr_kernarg_segment_ptr 1
		.amdhsa_user_sgpr_dispatch_id 0
		.amdhsa_user_sgpr_flat_scratch_init 0
		.amdhsa_user_sgpr_private_segment_size 0
		.amdhsa_uses_dynamic_stack 0
		.amdhsa_system_sgpr_private_segment_wavefront_offset 1
		.amdhsa_system_sgpr_workgroup_id_x 1
		.amdhsa_system_sgpr_workgroup_id_y 0
		.amdhsa_system_sgpr_workgroup_id_z 0
		.amdhsa_system_sgpr_workgroup_info 0
		.amdhsa_system_vgpr_workitem_id 0
		.amdhsa_next_free_vgpr 255
		.amdhsa_next_free_sgpr 52
		.amdhsa_reserve_vcc 1
		.amdhsa_reserve_flat_scratch 0
		.amdhsa_float_round_mode_32 0
		.amdhsa_float_round_mode_16_64 0
		.amdhsa_float_denorm_mode_32 3
		.amdhsa_float_denorm_mode_16_64 3
		.amdhsa_dx10_clamp 1
		.amdhsa_ieee_mode 1
		.amdhsa_fp16_overflow 0
		.amdhsa_exception_fp_ieee_invalid_op 0
		.amdhsa_exception_fp_denorm_src 0
		.amdhsa_exception_fp_ieee_div_zero 0
		.amdhsa_exception_fp_ieee_overflow 0
		.amdhsa_exception_fp_ieee_underflow 0
		.amdhsa_exception_fp_ieee_inexact 0
		.amdhsa_exception_int_div_zero 0
	.end_amdhsa_kernel
	.text
.Lfunc_end0:
	.size	fft_rtc_fwd_len520_factors_13_10_4_wgs_52_tpt_52_dp_op_CI_CI_unitstride_sbrr_R2C_dirReg, .Lfunc_end0-fft_rtc_fwd_len520_factors_13_10_4_wgs_52_tpt_52_dp_op_CI_CI_unitstride_sbrr_R2C_dirReg
                                        ; -- End function
	.section	.AMDGPU.csdata,"",@progbits
; Kernel info:
; codeLenInByte = 10336
; NumSgprs: 56
; NumVgprs: 255
; ScratchSize: 12
; MemoryBound: 0
; FloatMode: 240
; IeeeMode: 1
; LDSByteSize: 0 bytes/workgroup (compile time only)
; SGPRBlocks: 6
; VGPRBlocks: 63
; NumSGPRsForWavesPerEU: 56
; NumVGPRsForWavesPerEU: 255
; Occupancy: 1
; WaveLimiterHint : 1
; COMPUTE_PGM_RSRC2:SCRATCH_EN: 1
; COMPUTE_PGM_RSRC2:USER_SGPR: 6
; COMPUTE_PGM_RSRC2:TRAP_HANDLER: 0
; COMPUTE_PGM_RSRC2:TGID_X_EN: 1
; COMPUTE_PGM_RSRC2:TGID_Y_EN: 0
; COMPUTE_PGM_RSRC2:TGID_Z_EN: 0
; COMPUTE_PGM_RSRC2:TIDIG_COMP_CNT: 0
	.type	__hip_cuid_5f3f4b354588b748,@object ; @__hip_cuid_5f3f4b354588b748
	.section	.bss,"aw",@nobits
	.globl	__hip_cuid_5f3f4b354588b748
__hip_cuid_5f3f4b354588b748:
	.byte	0                               ; 0x0
	.size	__hip_cuid_5f3f4b354588b748, 1

	.ident	"AMD clang version 19.0.0git (https://github.com/RadeonOpenCompute/llvm-project roc-6.4.0 25133 c7fe45cf4b819c5991fe208aaa96edf142730f1d)"
	.section	".note.GNU-stack","",@progbits
	.addrsig
	.addrsig_sym __hip_cuid_5f3f4b354588b748
	.amdgpu_metadata
---
amdhsa.kernels:
  - .args:
      - .actual_access:  read_only
        .address_space:  global
        .offset:         0
        .size:           8
        .value_kind:     global_buffer
      - .offset:         8
        .size:           8
        .value_kind:     by_value
      - .actual_access:  read_only
        .address_space:  global
        .offset:         16
        .size:           8
        .value_kind:     global_buffer
      - .actual_access:  read_only
        .address_space:  global
        .offset:         24
        .size:           8
        .value_kind:     global_buffer
      - .actual_access:  read_only
        .address_space:  global
        .offset:         32
        .size:           8
        .value_kind:     global_buffer
      - .offset:         40
        .size:           8
        .value_kind:     by_value
      - .actual_access:  read_only
        .address_space:  global
        .offset:         48
        .size:           8
        .value_kind:     global_buffer
      - .actual_access:  read_only
        .address_space:  global
        .offset:         56
        .size:           8
        .value_kind:     global_buffer
      - .offset:         64
        .size:           4
        .value_kind:     by_value
      - .actual_access:  read_only
        .address_space:  global
        .offset:         72
        .size:           8
        .value_kind:     global_buffer
      - .actual_access:  read_only
        .address_space:  global
        .offset:         80
        .size:           8
        .value_kind:     global_buffer
      - .actual_access:  read_only
        .address_space:  global
        .offset:         88
        .size:           8
        .value_kind:     global_buffer
      - .actual_access:  write_only
        .address_space:  global
        .offset:         96
        .size:           8
        .value_kind:     global_buffer
    .group_segment_fixed_size: 0
    .kernarg_segment_align: 8
    .kernarg_segment_size: 104
    .language:       OpenCL C
    .language_version:
      - 2
      - 0
    .max_flat_workgroup_size: 52
    .name:           fft_rtc_fwd_len520_factors_13_10_4_wgs_52_tpt_52_dp_op_CI_CI_unitstride_sbrr_R2C_dirReg
    .private_segment_fixed_size: 12
    .sgpr_count:     56
    .sgpr_spill_count: 0
    .symbol:         fft_rtc_fwd_len520_factors_13_10_4_wgs_52_tpt_52_dp_op_CI_CI_unitstride_sbrr_R2C_dirReg.kd
    .uniform_work_group_size: 1
    .uses_dynamic_stack: false
    .vgpr_count:     255
    .vgpr_spill_count: 2
    .wavefront_size: 64
amdhsa.target:   amdgcn-amd-amdhsa--gfx906
amdhsa.version:
  - 1
  - 2
...

	.end_amdgpu_metadata
